;; amdgpu-corpus repo=ROCm/rocFFT kind=compiled arch=gfx906 opt=O3
	.text
	.amdgcn_target "amdgcn-amd-amdhsa--gfx906"
	.amdhsa_code_object_version 6
	.protected	fft_rtc_back_len1664_factors_13_2_2_4_2_2_2_wgs_208_tpt_208_halfLds_sp_op_CI_CI_unitstride_sbrr_R2C_dirReg ; -- Begin function fft_rtc_back_len1664_factors_13_2_2_4_2_2_2_wgs_208_tpt_208_halfLds_sp_op_CI_CI_unitstride_sbrr_R2C_dirReg
	.globl	fft_rtc_back_len1664_factors_13_2_2_4_2_2_2_wgs_208_tpt_208_halfLds_sp_op_CI_CI_unitstride_sbrr_R2C_dirReg
	.p2align	8
	.type	fft_rtc_back_len1664_factors_13_2_2_4_2_2_2_wgs_208_tpt_208_halfLds_sp_op_CI_CI_unitstride_sbrr_R2C_dirReg,@function
fft_rtc_back_len1664_factors_13_2_2_4_2_2_2_wgs_208_tpt_208_halfLds_sp_op_CI_CI_unitstride_sbrr_R2C_dirReg: ; @fft_rtc_back_len1664_factors_13_2_2_4_2_2_2_wgs_208_tpt_208_halfLds_sp_op_CI_CI_unitstride_sbrr_R2C_dirReg
; %bb.0:
	s_load_dwordx4 s[8:11], s[4:5], 0x58
	s_load_dwordx4 s[12:15], s[4:5], 0x0
	;; [unrolled: 1-line block ×3, first 2 shown]
	v_mul_u32_u24_e32 v1, 0x13c, v0
	v_add_u32_sdwa v5, s6, v1 dst_sel:DWORD dst_unused:UNUSED_PAD src0_sel:DWORD src1_sel:WORD_1
	v_mov_b32_e32 v3, 0
	s_waitcnt lgkmcnt(0)
	v_cmp_lt_u64_e64 s[0:1], s[14:15], 2
	v_mov_b32_e32 v1, 0
	v_mov_b32_e32 v6, v3
	s_and_b64 vcc, exec, s[0:1]
	v_mov_b32_e32 v2, 0
	s_cbranch_vccnz .LBB0_8
; %bb.1:
	s_load_dwordx2 s[0:1], s[4:5], 0x10
	s_add_u32 s2, s18, 8
	s_addc_u32 s3, s19, 0
	s_add_u32 s6, s16, 8
	v_mov_b32_e32 v1, 0
	s_addc_u32 s7, s17, 0
	v_mov_b32_e32 v2, 0
	s_waitcnt lgkmcnt(0)
	s_add_u32 s20, s0, 8
	v_mov_b32_e32 v25, v2
	s_addc_u32 s21, s1, 0
	s_mov_b64 s[22:23], 1
	v_mov_b32_e32 v24, v1
.LBB0_2:                                ; =>This Inner Loop Header: Depth=1
	s_load_dwordx2 s[24:25], s[20:21], 0x0
                                        ; implicit-def: $vgpr26_vgpr27
	s_waitcnt lgkmcnt(0)
	v_or_b32_e32 v4, s25, v6
	v_cmp_ne_u64_e32 vcc, 0, v[3:4]
	s_and_saveexec_b64 s[0:1], vcc
	s_xor_b64 s[26:27], exec, s[0:1]
	s_cbranch_execz .LBB0_4
; %bb.3:                                ;   in Loop: Header=BB0_2 Depth=1
	v_cvt_f32_u32_e32 v4, s24
	v_cvt_f32_u32_e32 v7, s25
	s_sub_u32 s0, 0, s24
	s_subb_u32 s1, 0, s25
	v_mac_f32_e32 v4, 0x4f800000, v7
	v_rcp_f32_e32 v4, v4
	v_mul_f32_e32 v4, 0x5f7ffffc, v4
	v_mul_f32_e32 v7, 0x2f800000, v4
	v_trunc_f32_e32 v7, v7
	v_mac_f32_e32 v4, 0xcf800000, v7
	v_cvt_u32_f32_e32 v7, v7
	v_cvt_u32_f32_e32 v4, v4
	v_mul_lo_u32 v8, s0, v7
	v_mul_hi_u32 v9, s0, v4
	v_mul_lo_u32 v11, s1, v4
	v_mul_lo_u32 v10, s0, v4
	v_add_u32_e32 v8, v9, v8
	v_add_u32_e32 v8, v8, v11
	v_mul_hi_u32 v9, v4, v10
	v_mul_lo_u32 v11, v4, v8
	v_mul_hi_u32 v13, v4, v8
	v_mul_hi_u32 v12, v7, v10
	v_mul_lo_u32 v10, v7, v10
	v_mul_hi_u32 v14, v7, v8
	v_add_co_u32_e32 v9, vcc, v9, v11
	v_addc_co_u32_e32 v11, vcc, 0, v13, vcc
	v_mul_lo_u32 v8, v7, v8
	v_add_co_u32_e32 v9, vcc, v9, v10
	v_addc_co_u32_e32 v9, vcc, v11, v12, vcc
	v_addc_co_u32_e32 v10, vcc, 0, v14, vcc
	v_add_co_u32_e32 v8, vcc, v9, v8
	v_addc_co_u32_e32 v9, vcc, 0, v10, vcc
	v_add_co_u32_e32 v4, vcc, v4, v8
	v_addc_co_u32_e32 v7, vcc, v7, v9, vcc
	v_mul_lo_u32 v8, s0, v7
	v_mul_hi_u32 v9, s0, v4
	v_mul_lo_u32 v10, s1, v4
	v_mul_lo_u32 v11, s0, v4
	v_add_u32_e32 v8, v9, v8
	v_add_u32_e32 v8, v8, v10
	v_mul_lo_u32 v12, v4, v8
	v_mul_hi_u32 v13, v4, v11
	v_mul_hi_u32 v14, v4, v8
	v_mul_hi_u32 v10, v7, v11
	v_mul_lo_u32 v11, v7, v11
	v_mul_hi_u32 v9, v7, v8
	v_add_co_u32_e32 v12, vcc, v13, v12
	v_addc_co_u32_e32 v13, vcc, 0, v14, vcc
	v_mul_lo_u32 v8, v7, v8
	v_add_co_u32_e32 v11, vcc, v12, v11
	v_addc_co_u32_e32 v10, vcc, v13, v10, vcc
	v_addc_co_u32_e32 v9, vcc, 0, v9, vcc
	v_add_co_u32_e32 v8, vcc, v10, v8
	v_addc_co_u32_e32 v9, vcc, 0, v9, vcc
	v_add_co_u32_e32 v4, vcc, v4, v8
	v_addc_co_u32_e32 v9, vcc, v7, v9, vcc
	v_mad_u64_u32 v[7:8], s[0:1], v5, v9, 0
	v_mul_hi_u32 v10, v5, v4
	v_add_co_u32_e32 v11, vcc, v10, v7
	v_addc_co_u32_e32 v12, vcc, 0, v8, vcc
	v_mad_u64_u32 v[7:8], s[0:1], v6, v4, 0
	v_mad_u64_u32 v[9:10], s[0:1], v6, v9, 0
	v_add_co_u32_e32 v4, vcc, v11, v7
	v_addc_co_u32_e32 v4, vcc, v12, v8, vcc
	v_addc_co_u32_e32 v7, vcc, 0, v10, vcc
	v_add_co_u32_e32 v4, vcc, v4, v9
	v_addc_co_u32_e32 v9, vcc, 0, v7, vcc
	v_mul_lo_u32 v10, s25, v4
	v_mul_lo_u32 v11, s24, v9
	v_mad_u64_u32 v[7:8], s[0:1], s24, v4, 0
	v_add3_u32 v8, v8, v11, v10
	v_sub_u32_e32 v10, v6, v8
	v_mov_b32_e32 v11, s25
	v_sub_co_u32_e32 v7, vcc, v5, v7
	v_subb_co_u32_e64 v10, s[0:1], v10, v11, vcc
	v_subrev_co_u32_e64 v11, s[0:1], s24, v7
	v_subbrev_co_u32_e64 v10, s[0:1], 0, v10, s[0:1]
	v_cmp_le_u32_e64 s[0:1], s25, v10
	v_cndmask_b32_e64 v12, 0, -1, s[0:1]
	v_cmp_le_u32_e64 s[0:1], s24, v11
	v_cndmask_b32_e64 v11, 0, -1, s[0:1]
	v_cmp_eq_u32_e64 s[0:1], s25, v10
	v_cndmask_b32_e64 v10, v12, v11, s[0:1]
	v_add_co_u32_e64 v11, s[0:1], 2, v4
	v_addc_co_u32_e64 v12, s[0:1], 0, v9, s[0:1]
	v_add_co_u32_e64 v13, s[0:1], 1, v4
	v_addc_co_u32_e64 v14, s[0:1], 0, v9, s[0:1]
	v_subb_co_u32_e32 v8, vcc, v6, v8, vcc
	v_cmp_ne_u32_e64 s[0:1], 0, v10
	v_cmp_le_u32_e32 vcc, s25, v8
	v_cndmask_b32_e64 v10, v14, v12, s[0:1]
	v_cndmask_b32_e64 v12, 0, -1, vcc
	v_cmp_le_u32_e32 vcc, s24, v7
	v_cndmask_b32_e64 v7, 0, -1, vcc
	v_cmp_eq_u32_e32 vcc, s25, v8
	v_cndmask_b32_e32 v7, v12, v7, vcc
	v_cmp_ne_u32_e32 vcc, 0, v7
	v_cndmask_b32_e64 v7, v13, v11, s[0:1]
	v_cndmask_b32_e32 v27, v9, v10, vcc
	v_cndmask_b32_e32 v26, v4, v7, vcc
.LBB0_4:                                ;   in Loop: Header=BB0_2 Depth=1
	s_andn2_saveexec_b64 s[0:1], s[26:27]
	s_cbranch_execz .LBB0_6
; %bb.5:                                ;   in Loop: Header=BB0_2 Depth=1
	v_cvt_f32_u32_e32 v4, s24
	s_sub_i32 s26, 0, s24
	v_mov_b32_e32 v27, v3
	v_rcp_iflag_f32_e32 v4, v4
	v_mul_f32_e32 v4, 0x4f7ffffe, v4
	v_cvt_u32_f32_e32 v4, v4
	v_mul_lo_u32 v7, s26, v4
	v_mul_hi_u32 v7, v4, v7
	v_add_u32_e32 v4, v4, v7
	v_mul_hi_u32 v4, v5, v4
	v_mul_lo_u32 v7, v4, s24
	v_add_u32_e32 v8, 1, v4
	v_sub_u32_e32 v7, v5, v7
	v_subrev_u32_e32 v9, s24, v7
	v_cmp_le_u32_e32 vcc, s24, v7
	v_cndmask_b32_e32 v7, v7, v9, vcc
	v_cndmask_b32_e32 v4, v4, v8, vcc
	v_add_u32_e32 v8, 1, v4
	v_cmp_le_u32_e32 vcc, s24, v7
	v_cndmask_b32_e32 v26, v4, v8, vcc
.LBB0_6:                                ;   in Loop: Header=BB0_2 Depth=1
	s_or_b64 exec, exec, s[0:1]
	v_mul_lo_u32 v4, v27, s24
	v_mul_lo_u32 v9, v26, s25
	v_mad_u64_u32 v[7:8], s[0:1], v26, s24, 0
	s_load_dwordx2 s[0:1], s[6:7], 0x0
	s_load_dwordx2 s[24:25], s[2:3], 0x0
	v_add3_u32 v4, v8, v9, v4
	v_sub_co_u32_e32 v5, vcc, v5, v7
	v_subb_co_u32_e32 v4, vcc, v6, v4, vcc
	s_waitcnt lgkmcnt(0)
	v_mul_lo_u32 v6, s0, v4
	v_mul_lo_u32 v7, s1, v5
	v_mad_u64_u32 v[1:2], s[0:1], s0, v5, v[1:2]
	v_mul_lo_u32 v4, s24, v4
	v_mul_lo_u32 v8, s25, v5
	v_mad_u64_u32 v[24:25], s[0:1], s24, v5, v[24:25]
	s_add_u32 s22, s22, 1
	s_addc_u32 s23, s23, 0
	s_add_u32 s2, s2, 8
	v_add3_u32 v25, v8, v25, v4
	s_addc_u32 s3, s3, 0
	v_mov_b32_e32 v4, s14
	s_add_u32 s6, s6, 8
	v_mov_b32_e32 v5, s15
	s_addc_u32 s7, s7, 0
	v_cmp_ge_u64_e32 vcc, s[22:23], v[4:5]
	s_add_u32 s20, s20, 8
	v_add3_u32 v2, v7, v2, v6
	s_addc_u32 s21, s21, 0
	s_cbranch_vccnz .LBB0_9
; %bb.7:                                ;   in Loop: Header=BB0_2 Depth=1
	v_mov_b32_e32 v5, v26
	v_mov_b32_e32 v6, v27
	s_branch .LBB0_2
.LBB0_8:
	v_mov_b32_e32 v25, v2
	v_mov_b32_e32 v27, v6
	;; [unrolled: 1-line block ×4, first 2 shown]
.LBB0_9:
	s_load_dwordx2 s[4:5], s[4:5], 0x28
	s_lshl_b64 s[6:7], s[14:15], 3
	s_add_u32 s2, s18, s6
	s_addc_u32 s3, s19, s7
                                        ; implicit-def: $vgpr28
	s_waitcnt lgkmcnt(0)
	v_cmp_gt_u64_e64 s[0:1], s[4:5], v[26:27]
	v_cmp_le_u64_e32 vcc, s[4:5], v[26:27]
	s_and_saveexec_b64 s[4:5], vcc
	s_xor_b64 s[4:5], exec, s[4:5]
; %bb.10:
	s_mov_b32 s14, 0x13b13b2
	v_mul_hi_u32 v1, v0, s14
	v_mul_u32_u24_e32 v1, 0xd0, v1
	v_sub_u32_e32 v28, v0, v1
                                        ; implicit-def: $vgpr0
                                        ; implicit-def: $vgpr1_vgpr2
; %bb.11:
	s_andn2_saveexec_b64 s[4:5], s[4:5]
	s_cbranch_execz .LBB0_13
; %bb.12:
	s_add_u32 s6, s16, s6
	s_addc_u32 s7, s17, s7
	s_load_dwordx2 s[6:7], s[6:7], 0x0
	s_mov_b32 s14, 0x13b13b2
	v_mul_hi_u32 v5, v0, s14
	s_waitcnt lgkmcnt(0)
	v_mul_lo_u32 v6, s7, v26
	v_mul_lo_u32 v7, s6, v27
	v_mad_u64_u32 v[3:4], s[6:7], s6, v26, 0
	v_mul_u32_u24_e32 v5, 0xd0, v5
	v_sub_u32_e32 v28, v0, v5
	v_add3_u32 v4, v4, v7, v6
	v_lshlrev_b64 v[3:4], 3, v[3:4]
	v_mov_b32_e32 v0, s9
	v_add_co_u32_e32 v3, vcc, s8, v3
	v_addc_co_u32_e32 v4, vcc, v0, v4, vcc
	v_lshlrev_b64 v[0:1], 3, v[1:2]
	v_lshlrev_b32_e32 v20, 3, v28
	v_add_co_u32_e32 v0, vcc, v3, v0
	v_addc_co_u32_e32 v1, vcc, v4, v1, vcc
	v_add_co_u32_e32 v0, vcc, v0, v20
	v_addc_co_u32_e32 v1, vcc, 0, v1, vcc
	s_movk_i32 s6, 0x1000
	v_add_co_u32_e32 v2, vcc, s6, v0
	v_addc_co_u32_e32 v3, vcc, 0, v1, vcc
	v_add_co_u32_e32 v4, vcc, 0x2000, v0
	global_load_dwordx2 v[6:7], v[0:1], off
	global_load_dwordx2 v[8:9], v[0:1], off offset:1664
	global_load_dwordx2 v[10:11], v[0:1], off offset:3328
	;; [unrolled: 1-line block ×3, first 2 shown]
	v_addc_co_u32_e32 v5, vcc, 0, v1, vcc
	global_load_dwordx2 v[0:1], v[2:3], off offset:2560
	global_load_dwordx2 v[14:15], v[4:5], off offset:128
	;; [unrolled: 1-line block ×4, first 2 shown]
	v_add_u32_e32 v2, 0, v20
	v_add_u32_e32 v3, 0xc00, v2
	;; [unrolled: 1-line block ×4, first 2 shown]
	s_waitcnt vmcnt(6)
	ds_write2_b64 v2, v[6:7], v[8:9] offset1:208
	s_waitcnt vmcnt(4)
	ds_write2_b64 v3, v[10:11], v[12:13] offset0:32 offset1:240
	s_waitcnt vmcnt(2)
	ds_write2_b64 v4, v[0:1], v[14:15] offset1:208
	s_waitcnt vmcnt(0)
	ds_write2_b64 v5, v[16:17], v[18:19] offset0:32 offset1:240
.LBB0_13:
	s_or_b64 exec, exec, s[4:5]
	v_lshl_add_u32 v31, v28, 3, 0
	s_waitcnt lgkmcnt(0)
	s_barrier
	ds_read2st64_b64 v[0:3], v31 offset1:2
	ds_read2st64_b64 v[8:11], v31 offset0:4 offset1:6
	ds_read2st64_b64 v[16:19], v31 offset0:8 offset1:10
	;; [unrolled: 1-line block ×3, first 2 shown]
	ds_read_b64 v[29:30], v31 offset:12288
	ds_read2st64_b64 v[20:23], v31 offset0:16 offset1:18
	ds_read2st64_b64 v[12:15], v31 offset0:20 offset1:22
	s_movk_i32 s4, 0x80
	v_cmp_gt_u32_e32 vcc, s4, v28
	s_waitcnt lgkmcnt(0)
	s_barrier
	s_and_saveexec_b64 s[4:5], vcc
	s_cbranch_execz .LBB0_15
; %bb.14:
	v_add_f32_e32 v32, v1, v3
	v_add_f32_e32 v32, v32, v9
	;; [unrolled: 1-line block ×11, first 2 shown]
	v_sub_f32_e32 v33, v18, v20
	v_sub_f32_e32 v35, v17, v23
	v_add_f32_e32 v17, v20, v18
	v_add_f32_e32 v18, v36, v5
	;; [unrolled: 1-line block ×5, first 2 shown]
	v_sub_f32_e32 v34, v19, v21
	v_add_f32_e32 v21, v18, v23
	v_add_f32_e32 v18, v37, v4
	;; [unrolled: 1-line block ×5, first 2 shown]
	v_sub_f32_e32 v32, v16, v22
	v_add_f32_e32 v16, v22, v16
	v_add_f32_e32 v22, v15, v9
	;; [unrolled: 1-line block ×3, first 2 shown]
	v_sub_f32_e32 v19, v10, v12
	v_sub_f32_e32 v36, v9, v15
	v_add_f32_e32 v9, v12, v10
	v_sub_f32_e32 v10, v11, v13
	v_add_f32_e32 v11, v21, v13
	v_add_f32_e32 v12, v20, v12
	;; [unrolled: 1-line block ×3, first 2 shown]
	v_sub_f32_e32 v18, v8, v14
	v_add_f32_e32 v8, v14, v8
	v_add_f32_e32 v12, v12, v14
	v_mul_f32_e32 v14, 0xbf788fa5, v13
	v_mul_f32_e32 v21, 0xbf3f9e67, v13
	;; [unrolled: 1-line block ×6, first 2 shown]
	v_add_f32_e32 v11, v11, v15
	v_sub_f32_e32 v15, v2, v29
	v_mov_b32_e32 v20, v14
	v_mov_b32_e32 v37, v21
	;; [unrolled: 1-line block ×6, first 2 shown]
	v_sub_f32_e32 v3, v3, v30
	v_fmac_f32_e32 v20, 0x3e750f2a, v15
	v_fmac_f32_e32 v37, 0x3f29c268, v15
	;; [unrolled: 1-line block ×12, first 2 shown]
	v_mul_f32_e32 v15, 0xbe750f2a, v3
	v_mul_f32_e32 v48, 0xbf29c268, v3
	;; [unrolled: 1-line block ×6, first 2 shown]
	s_mov_b32 s6, 0xbf788fa5
	s_mov_b32 s15, 0x3f62ad3f
	;; [unrolled: 1-line block ×6, first 2 shown]
	v_add_f32_e32 v2, v29, v2
	v_mov_b32_e32 v47, v15
	v_mov_b32_e32 v49, v48
	;; [unrolled: 1-line block ×6, first 2 shown]
	v_fmac_f32_e32 v47, 0xbf788fa5, v2
	v_fmac_f32_e32 v49, 0xbf3f9e67, v2
	;; [unrolled: 1-line block ×6, first 2 shown]
	v_fma_f32 v15, v2, s6, -v15
	v_fma_f32 v48, v2, s7, -v48
	;; [unrolled: 1-line block ×6, first 2 shown]
	v_mul_f32_e32 v61, 0x3f116cb1, v22
	v_add_f32_e32 v57, v0, v2
	v_mov_b32_e32 v2, v61
	v_add_f32_e32 v3, v1, v46
	v_fmac_f32_e32 v2, 0x3f52af12, v18
	v_mul_f32_e32 v62, 0x3df6dbef, v23
	v_add_f32_e32 v2, v2, v3
	v_mov_b32_e32 v3, v62
	v_fmac_f32_e32 v3, 0x3f7e222b, v19
	v_mul_f32_e32 v63, 0xbeb58ec6, v38
	v_add_f32_e32 v2, v3, v2
	v_mov_b32_e32 v3, v63
	;; [unrolled: 4-line block ×4, first 2 shown]
	v_add_f32_e32 v46, v0, v56
	v_fmac_f32_e32 v3, 0x3f116cb1, v8
	v_add_f32_e32 v3, v3, v46
	v_mul_f32_e32 v46, 0xbf7e222b, v10
	v_sub_f32_e32 v58, v4, v6
	v_add_f32_e32 v59, v6, v4
	v_mov_b32_e32 v4, v46
	v_fmac_f32_e32 v4, 0x3df6dbef, v9
	v_mul_f32_e32 v66, 0xbf6f5d39, v35
	v_add_f32_e32 v3, v4, v3
	v_mov_b32_e32 v4, v66
	v_fmac_f32_e32 v4, 0xbeb58ec6, v16
	v_mul_f32_e32 v67, 0xbf29c268, v34
	v_add_f32_e32 v56, v1, v13
	v_add_f32_e32 v13, v7, v5
	;; [unrolled: 1-line block ×3, first 2 shown]
	v_mov_b32_e32 v4, v67
	v_fmac_f32_e32 v4, 0xbf3f9e67, v17
	v_mul_f32_e32 v68, 0xbf788fa5, v13
	v_sub_f32_e32 v60, v5, v7
	v_add_f32_e32 v4, v4, v3
	v_mov_b32_e32 v3, v68
	v_fmac_f32_e32 v3, 0x3e750f2a, v58
	v_mul_f32_e32 v69, 0xbe750f2a, v60
	v_add_f32_e32 v3, v3, v2
	v_mov_b32_e32 v2, v69
	v_fmac_f32_e32 v2, 0xbf788fa5, v59
	s_movk_i32 s16, 0x60
	v_add_f32_e32 v20, v1, v20
	v_add_f32_e32 v47, v0, v47
	;; [unrolled: 1-line block ×23, first 2 shown]
	v_mad_u32_u24 v70, v28, s16, v31
	v_mul_f32_e32 v12, 0x3f62ad3f, v22
	ds_write2_b64 v70, v[0:1], v[2:3] offset1:1
	v_mov_b32_e32 v0, v12
	v_fmac_f32_e32 v0, 0xbeedf032, v18
	v_add_f32_e32 v0, v0, v20
	v_mul_f32_e32 v20, 0xbf3f9e67, v23
	v_mov_b32_e32 v1, v20
	v_fmac_f32_e32 v1, 0x3f29c268, v19
	v_mul_f32_e32 v29, 0x3f116cb1, v38
	v_add_f32_e32 v0, v1, v0
	v_mov_b32_e32 v1, v29
	v_fmac_f32_e32 v1, 0xbf52af12, v32
	v_mul_f32_e32 v30, 0xbeb58ec6, v39
	v_add_f32_e32 v0, v1, v0
	v_mov_b32_e32 v1, v30
	v_fmac_f32_e32 v1, 0x3f6f5d39, v33
	v_mul_f32_e32 v71, 0x3eedf032, v36
	v_add_f32_e32 v0, v1, v0
	v_mov_b32_e32 v1, v71
	v_fmac_f32_e32 v1, 0x3f62ad3f, v8
	v_add_f32_e32 v1, v1, v47
	v_mul_f32_e32 v47, 0xbf29c268, v10
	v_mov_b32_e32 v2, v47
	v_fmac_f32_e32 v2, 0xbf3f9e67, v9
	v_mul_f32_e32 v72, 0x3f52af12, v35
	v_add_f32_e32 v1, v2, v1
	v_mov_b32_e32 v2, v72
	v_fmac_f32_e32 v2, 0x3f116cb1, v16
	v_mul_f32_e32 v73, 0xbf6f5d39, v34
	v_add_f32_e32 v1, v2, v1
	v_mov_b32_e32 v2, v73
	v_fmac_f32_e32 v2, 0xbeb58ec6, v17
	v_mul_f32_e32 v74, 0x3df6dbef, v13
	v_add_f32_e32 v2, v2, v1
	v_mov_b32_e32 v1, v74
	v_fmac_f32_e32 v1, 0xbf7e222b, v58
	v_mul_f32_e32 v75, 0x3f7e222b, v60
	v_add_f32_e32 v1, v1, v0
	v_mov_b32_e32 v0, v75
	v_fmac_f32_e32 v0, 0x3df6dbef, v59
	v_mul_f32_e32 v76, 0x3df6dbef, v22
	v_add_f32_e32 v0, v0, v2
	v_mov_b32_e32 v2, v76
	v_fmac_f32_e32 v2, 0xbf7e222b, v18
	v_add_f32_e32 v2, v2, v37
	v_mul_f32_e32 v37, 0x3f116cb1, v23
	v_mov_b32_e32 v3, v37
	v_fmac_f32_e32 v3, 0x3f52af12, v19
	v_mul_f32_e32 v77, 0xbf788fa5, v38
	v_add_f32_e32 v2, v3, v2
	v_mov_b32_e32 v3, v77
	v_fmac_f32_e32 v3, 0xbe750f2a, v32
	v_mul_f32_e32 v78, 0x3f62ad3f, v39
	v_add_f32_e32 v2, v3, v2
	v_mov_b32_e32 v3, v78
	v_fmac_f32_e32 v3, 0xbeedf032, v33
	v_mul_f32_e32 v79, 0x3f7e222b, v36
	v_add_f32_e32 v2, v3, v2
	v_mov_b32_e32 v3, v79
	v_fmac_f32_e32 v3, 0x3df6dbef, v8
	v_add_f32_e32 v3, v3, v49
	v_mul_f32_e32 v49, 0xbf52af12, v10
	v_mov_b32_e32 v4, v49
	v_fmac_f32_e32 v4, 0x3f116cb1, v9
	v_mul_f32_e32 v80, 0x3e750f2a, v35
	v_add_f32_e32 v3, v4, v3
	v_mov_b32_e32 v4, v80
	v_fmac_f32_e32 v4, 0xbf788fa5, v16
	v_mul_f32_e32 v81, 0x3eedf032, v34
	v_add_f32_e32 v3, v4, v3
	v_mov_b32_e32 v4, v81
	v_fmac_f32_e32 v4, 0x3f62ad3f, v17
	v_mul_f32_e32 v82, 0xbeb58ec6, v13
	v_add_f32_e32 v4, v4, v3
	v_mov_b32_e32 v3, v82
	v_fmac_f32_e32 v3, 0x3f6f5d39, v58
	v_mul_f32_e32 v83, 0xbf6f5d39, v60
	v_add_f32_e32 v3, v3, v2
	v_mov_b32_e32 v2, v83
	v_fmac_f32_e32 v2, 0xbeb58ec6, v59
	v_mul_f32_e32 v84, 0xbf3f9e67, v22
	v_add_f32_e32 v2, v2, v4
	;; [unrolled: 40-line block ×4, first 2 shown]
	v_mov_b32_e32 v11, v100
	v_fmac_f32_e32 v11, 0x3f6f5d39, v18
	v_add_f32_e32 v11, v11, v45
	v_mul_f32_e32 v45, 0xbf788fa5, v23
	v_mov_b32_e32 v22, v45
	v_fmac_f32_e32 v22, 0x3e750f2a, v19
	v_mul_f32_e32 v38, 0xbf3f9e67, v38
	v_add_f32_e32 v11, v22, v11
	v_mov_b32_e32 v22, v38
	v_fmac_f32_e32 v22, 0xbf29c268, v32
	v_mul_f32_e32 v39, 0x3df6dbef, v39
	v_add_f32_e32 v11, v22, v11
	v_mov_b32_e32 v22, v39
	v_fmac_f32_e32 v22, 0xbf7e222b, v33
	v_mul_f32_e32 v36, 0xbf6f5d39, v36
	v_add_f32_e32 v11, v22, v11
	v_mov_b32_e32 v22, v36
	v_fmac_f32_e32 v22, 0xbeb58ec6, v8
	v_add_f32_e32 v22, v22, v55
	v_mul_f32_e32 v55, 0xbe750f2a, v10
	v_mov_b32_e32 v10, v55
	v_fmac_f32_e32 v10, 0xbf788fa5, v9
	v_mul_f32_e32 v35, 0x3f29c268, v35
	v_add_f32_e32 v10, v10, v22
	v_mov_b32_e32 v22, v35
	v_mul_f32_e32 v101, 0x3f62ad3f, v13
	v_fmac_f32_e32 v22, 0xbf3f9e67, v16
	v_mul_f32_e32 v34, 0x3f7e222b, v34
	v_mov_b32_e32 v13, v101
	v_add_f32_e32 v10, v22, v10
	v_mov_b32_e32 v22, v34
	v_fmac_f32_e32 v13, 0xbeedf032, v58
	v_mul_f32_e32 v60, 0x3eedf032, v60
	v_fmac_f32_e32 v22, 0x3df6dbef, v17
	v_add_f32_e32 v11, v13, v11
	v_mov_b32_e32 v13, v60
	v_add_f32_e32 v10, v22, v10
	v_fmac_f32_e32 v13, 0x3f62ad3f, v59
	v_fmac_f32_e32 v12, 0x3eedf032, v18
	v_add_f32_e32 v10, v13, v10
	v_add_f32_e32 v12, v12, v14
	v_fmac_f32_e32 v20, 0xbf29c268, v19
	v_fma_f32 v13, v8, s15, -v71
	v_add_f32_e32 v12, v20, v12
	v_fmac_f32_e32 v29, 0x3f52af12, v32
	v_add_f32_e32 v13, v13, v15
	v_fma_f32 v14, v9, s7, -v47
	v_add_f32_e32 v12, v29, v12
	v_fmac_f32_e32 v30, 0xbf6f5d39, v33
	v_add_f32_e32 v13, v14, v13
	v_fma_f32 v14, v16, s9, -v72
	v_add_f32_e32 v12, v30, v12
	v_add_f32_e32 v13, v14, v13
	v_fma_f32 v14, v17, s8, -v73
	v_fmac_f32_e32 v74, 0x3f7e222b, v58
	v_add_f32_e32 v14, v14, v13
	v_add_f32_e32 v13, v74, v12
	v_fma_f32 v12, v59, s14, -v75
	v_fmac_f32_e32 v76, 0x3f7e222b, v18
	v_add_f32_e32 v12, v12, v14
	v_add_f32_e32 v14, v76, v21
	v_fmac_f32_e32 v37, 0xbf52af12, v19
	v_fma_f32 v15, v8, s14, -v79
	v_add_f32_e32 v14, v37, v14
	v_fmac_f32_e32 v77, 0x3e750f2a, v32
	v_add_f32_e32 v15, v15, v48
	v_fma_f32 v20, v9, s9, -v49
	v_add_f32_e32 v14, v77, v14
	v_fmac_f32_e32 v78, 0x3eedf032, v33
	v_add_f32_e32 v15, v20, v15
	v_fma_f32 v20, v16, s6, -v80
	v_add_f32_e32 v14, v78, v14
	v_add_f32_e32 v15, v20, v15
	v_fma_f32 v20, v17, s15, -v81
	v_fmac_f32_e32 v82, 0xbf6f5d39, v58
	v_add_f32_e32 v20, v20, v15
	v_add_f32_e32 v15, v82, v14
	v_fma_f32 v14, v59, s8, -v83
	;; [unrolled: 20-line block ×4, first 2 shown]
	v_fmac_f32_e32 v100, 0xbf6f5d39, v18
	v_add_f32_e32 v22, v22, v29
	v_add_f32_e32 v29, v100, v44
	v_fmac_f32_e32 v45, 0xbe750f2a, v19
	v_fma_f32 v30, v8, s8, -v36
	v_fmac_f32_e32 v61, 0xbf52af12, v18
	v_fma_f32 v8, v8, s9, -v65
	v_add_f32_e32 v29, v45, v29
	v_fmac_f32_e32 v38, 0x3f29c268, v32
	v_add_f32_e32 v30, v30, v54
	v_fma_f32 v36, v9, s6, -v55
	v_add_f32_e32 v18, v61, v56
	v_fmac_f32_e32 v62, 0xbf7e222b, v19
	v_add_f32_e32 v8, v8, v57
	;; [unrolled: 4-line block ×4, first 2 shown]
	v_fma_f32 v9, v16, s8, -v66
	v_add_f32_e32 v29, v39, v29
	v_add_f32_e32 v30, v35, v30
	v_fma_f32 v34, v17, s14, -v34
	v_fmac_f32_e32 v101, 0x3eedf032, v58
	v_add_f32_e32 v18, v63, v18
	v_fmac_f32_e32 v64, 0xbf29c268, v33
	v_add_f32_e32 v8, v9, v8
	v_fma_f32 v9, v17, s7, -v67
	v_add_f32_e32 v34, v34, v30
	v_add_f32_e32 v30, v101, v29
	v_fma_f32 v29, v59, s15, -v60
	v_add_f32_e32 v18, v64, v18
	v_fmac_f32_e32 v68, 0xbe750f2a, v58
	v_add_f32_e32 v8, v9, v8
	v_fma_f32 v16, v59, s6, -v69
	v_add_f32_e32 v29, v29, v34
	v_add_f32_e32 v9, v68, v18
	;; [unrolled: 1-line block ×3, first 2 shown]
	ds_write2_b64 v70, v[10:11], v[6:7] offset0:2 offset1:3
	ds_write2_b64 v70, v[4:5], v[2:3] offset0:4 offset1:5
	;; [unrolled: 1-line block ×5, first 2 shown]
	ds_write_b64 v70, v[8:9] offset:96
.LBB0_15:
	s_or_b64 exec, exec, s[4:5]
	s_movk_i32 s4, 0x4f
	v_mul_lo_u16_sdwa v38, v28, s4 dst_sel:DWORD dst_unused:UNUSED_PAD src0_sel:BYTE_0 src1_sel:DWORD
	v_add_u32_e32 v23, 0xd0, v28
	v_lshrrev_b16_e32 v39, 10, v38
	s_movk_i32 s4, 0x4ec5
	v_mul_lo_u16_e32 v0, 13, v39
	v_mul_u32_u24_sdwa v41, v23, s4 dst_sel:DWORD dst_unused:UNUSED_PAD src0_sel:WORD_0 src1_sel:DWORD
	v_add_u32_e32 v6, 0x1a0, v28
	v_add_u32_e32 v5, 0x270, v28
	v_sub_u16_e32 v0, v28, v0
	v_mov_b32_e32 v42, 3
	v_lshrrev_b32_e32 v43, 18, v41
	v_lshlrev_b32_sdwa v40, v42, v0 dst_sel:DWORD dst_unused:UNUSED_PAD src0_sel:DWORD src1_sel:BYTE_0
	v_mul_lo_u16_e32 v0, 13, v43
	v_mul_u32_u24_sdwa v7, v6, s4 dst_sel:DWORD dst_unused:UNUSED_PAD src0_sel:WORD_0 src1_sel:DWORD
	v_mul_u32_u24_sdwa v8, v5, s4 dst_sel:DWORD dst_unused:UNUSED_PAD src0_sel:WORD_0 src1_sel:DWORD
	v_sub_u16_e32 v0, v23, v0
	v_lshrrev_b32_e32 v45, 18, v7
	v_lshrrev_b32_e32 v47, 18, v8
	v_lshlrev_b32_e32 v44, 3, v0
	v_mul_lo_u16_e32 v0, 13, v45
	v_mul_lo_u16_e32 v2, 13, v47
	v_sub_u16_e32 v0, v6, v0
	v_sub_u16_e32 v2, v5, v2
	s_load_dwordx2 s[2:3], s[2:3], 0x0
	s_waitcnt lgkmcnt(0)
	s_barrier
	v_lshlrev_b32_e32 v46, 3, v0
	global_load_dwordx2 v[0:1], v40, s[12:13]
	global_load_dwordx2 v[21:22], v44, s[12:13]
	;; [unrolled: 1-line block ×3, first 2 shown]
	v_lshlrev_b32_e32 v48, 3, v2
	global_load_dwordx2 v[36:37], v48, s[12:13]
	v_add_u32_e32 v3, 0x1a00, v31
	ds_read2_b64 v[9:12], v31 offset1:208
	v_add_u32_e32 v2, 0xc00, v31
	v_add_u32_e32 v4, 0x2600, v31
	ds_read2_b64 v[13:16], v3 offset1:208
	ds_read2_b64 v[17:20], v2 offset0:32 offset1:240
	ds_read2_b64 v[32:35], v4 offset0:32 offset1:240
	v_mul_u32_u24_e32 v39, 0xd0, v39
	v_mul_u32_u24_e32 v43, 0xd0, v43
	;; [unrolled: 1-line block ×4, first 2 shown]
	v_add3_u32 v39, 0, v39, v40
	v_add3_u32 v40, 0, v43, v44
	v_add3_u32 v43, 0, v45, v46
	v_add3_u32 v44, 0, v47, v48
	s_waitcnt vmcnt(0) lgkmcnt(0)
	s_barrier
	s_movk_i32 s4, 0x1000
	s_add_u32 s6, s12, 0x3398
	s_addc_u32 s7, s13, 0
	v_mul_f32_e32 v45, v1, v14
	v_mul_f32_e32 v1, v1, v13
	;; [unrolled: 1-line block ×8, first 2 shown]
	v_fmac_f32_e32 v45, v0, v13
	v_fma_f32 v1, v0, v14, -v1
	v_fmac_f32_e32 v46, v21, v15
	v_fma_f32 v14, v21, v16, -v22
	;; [unrolled: 2-line block ×4, first 2 shown]
	v_sub_f32_e32 v0, v9, v45
	v_sub_f32_e32 v1, v10, v1
	;; [unrolled: 1-line block ×8, first 2 shown]
	v_fma_f32 v9, v9, 2.0, -v0
	v_fma_f32 v10, v10, 2.0, -v1
	;; [unrolled: 1-line block ×8, first 2 shown]
	ds_write2_b64 v39, v[9:10], v[0:1] offset1:13
	ds_write2_b64 v40, v[11:12], v[13:14] offset1:13
	;; [unrolled: 1-line block ×4, first 2 shown]
	v_lshrrev_b16_e32 v9, 11, v38
	v_mul_lo_u16_e32 v0, 26, v9
	v_sub_u16_e32 v0, v28, v0
	v_lshrrev_b32_e32 v11, 19, v41
	v_lshlrev_b32_sdwa v10, v42, v0 dst_sel:DWORD dst_unused:UNUSED_PAD src0_sel:DWORD src1_sel:BYTE_0
	v_mul_lo_u16_e32 v0, 26, v11
	v_sub_u16_e32 v0, v23, v0
	v_lshrrev_b32_e32 v13, 19, v7
	v_lshlrev_b32_e32 v12, 3, v0
	v_mul_lo_u16_e32 v0, 26, v13
	v_lshrrev_b32_e32 v15, 19, v8
	v_sub_u16_e32 v0, v6, v0
	v_mul_lo_u16_e32 v16, 26, v15
	v_lshlrev_b32_e32 v14, 3, v0
	v_sub_u16_e32 v16, v5, v16
	s_waitcnt lgkmcnt(0)
	s_barrier
	global_load_dwordx2 v[0:1], v10, s[12:13] offset:104
	global_load_dwordx2 v[21:22], v12, s[12:13] offset:104
	;; [unrolled: 1-line block ×3, first 2 shown]
	v_lshlrev_b32_e32 v16, 3, v16
	global_load_dwordx2 v[36:37], v16, s[12:13] offset:104
	v_lshrrev_b16_e32 v38, 12, v38
	v_mul_lo_u16_e32 v17, 52, v38
	v_sub_u16_e32 v39, v28, v17
	v_mul_u32_u24_e32 v9, 0x1a0, v9
	v_mul_u32_u24_e32 v11, 0x1a0, v11
	;; [unrolled: 1-line block ×4, first 2 shown]
	v_mul_u32_u24_sdwa v17, v39, v42 dst_sel:DWORD dst_unused:UNUSED_PAD src0_sel:BYTE_0 src1_sel:DWORD
	v_add3_u32 v40, 0, v9, v10
	v_add3_u32 v43, 0, v11, v12
	;; [unrolled: 1-line block ×4, first 2 shown]
	v_lshlrev_b32_e32 v46, 3, v17
	ds_read2_b64 v[9:12], v31 offset1:208
	ds_read2_b64 v[13:16], v3 offset1:208
	ds_read2_b64 v[17:20], v2 offset0:32 offset1:240
	ds_read2_b64 v[32:35], v4 offset0:32 offset1:240
	s_waitcnt vmcnt(0) lgkmcnt(0)
	s_barrier
	v_lshrrev_b32_e32 v7, 22, v7
	v_mul_lo_u16_e32 v7, 0xd0, v7
	v_sub_u16_e32 v6, v6, v7
	v_lshrrev_b32_e32 v7, 22, v8
	v_mul_lo_u16_e32 v7, 0xd0, v7
	v_sub_u16_e32 v5, v5, v7
	v_lshlrev_b32_e32 v6, 3, v6
	v_lshlrev_b32_e32 v5, 3, v5
	v_mul_f32_e32 v47, v1, v14
	v_mul_f32_e32 v1, v1, v13
	;; [unrolled: 1-line block ×8, first 2 shown]
	v_fmac_f32_e32 v47, v0, v13
	v_fma_f32 v1, v0, v14, -v1
	v_fmac_f32_e32 v49, v29, v32
	v_fmac_f32_e32 v48, v21, v15
	v_fma_f32 v14, v21, v16, -v22
	v_fma_f32 v16, v29, v33, -v30
	v_fmac_f32_e32 v50, v36, v34
	v_fma_f32 v22, v36, v35, -v37
	v_sub_f32_e32 v0, v9, v47
	v_sub_f32_e32 v1, v10, v1
	;; [unrolled: 1-line block ×8, first 2 shown]
	v_fma_f32 v9, v9, 2.0, -v0
	v_fma_f32 v10, v10, 2.0, -v1
	v_fma_f32 v17, v17, 2.0, -v15
	v_fma_f32 v11, v11, 2.0, -v13
	v_fma_f32 v12, v12, 2.0, -v14
	v_fma_f32 v18, v18, 2.0, -v16
	v_fma_f32 v19, v19, 2.0, -v21
	v_fma_f32 v20, v20, 2.0, -v22
	ds_write2_b64 v40, v[9:10], v[0:1] offset1:26
	ds_write2_b64 v43, v[11:12], v[13:14] offset1:26
	;; [unrolled: 1-line block ×4, first 2 shown]
	v_lshrrev_b32_e32 v17, 20, v41
	v_mul_lo_u16_e32 v0, 52, v17
	v_sub_u16_e32 v18, v23, v0
	v_mul_u32_u24_e32 v0, 3, v18
	s_waitcnt lgkmcnt(0)
	s_barrier
	global_load_dwordx2 v[21:22], v46, s[12:13] offset:328
	global_load_dwordx4 v[9:12], v46, s[12:13] offset:312
	v_lshlrev_b32_e32 v0, 3, v0
	global_load_dwordx4 v[13:16], v0, s[12:13] offset:312
	global_load_dwordx2 v[40:41], v0, s[12:13] offset:328
	v_mov_b32_e32 v29, 0
	v_mul_u32_u24_e32 v19, 0x680, v38
	v_mul_u32_u24_e32 v17, 0x680, v17
	v_lshlrev_b32_sdwa v20, v42, v39 dst_sel:DWORD dst_unused:UNUSED_PAD src0_sel:DWORD src1_sel:BYTE_0
	v_lshlrev_b32_e32 v18, 3, v18
	v_add_u32_e32 v23, 0x2c00, v31
	v_lshlrev_b64 v[0:1], 3, v[28:29]
	v_add3_u32 v45, 0, v19, v20
	v_add3_u32 v46, 0, v17, v18
	ds_read2_b64 v[17:20], v31 offset1:208
	ds_read2_b64 v[32:35], v2 offset0:32 offset1:240
	ds_read2_b64 v[36:39], v3 offset1:208
	ds_read_b64 v[29:30], v31 offset:9984
	ds_read2_b32 v[42:43], v23 offset0:96 offset1:97
	v_mov_b32_e32 v44, s13
	s_waitcnt vmcnt(0) lgkmcnt(0)
	s_barrier
	v_mul_f32_e32 v48, v22, v30
	v_mul_f32_e32 v23, v10, v33
	;; [unrolled: 1-line block ×12, first 2 shown]
	v_fmac_f32_e32 v23, v9, v32
	v_fma_f32 v9, v9, v33, -v10
	v_fmac_f32_e32 v47, v11, v36
	v_fma_f32 v10, v11, v37, -v12
	;; [unrolled: 2-line block ×6, first 2 shown]
	v_sub_f32_e32 v15, v17, v47
	v_sub_f32_e32 v16, v18, v10
	;; [unrolled: 1-line block ×8, first 2 shown]
	v_fma_f32 v29, v17, 2.0, -v15
	v_fma_f32 v17, v23, 2.0, -v10
	;; [unrolled: 1-line block ×4, first 2 shown]
	v_add_f32_e32 v9, v15, v11
	v_fma_f32 v23, v19, 2.0, -v21
	v_fma_f32 v32, v20, 2.0, -v22
	;; [unrolled: 1-line block ×4, first 2 shown]
	v_add_f32_e32 v11, v21, v14
	v_sub_f32_e32 v12, v22, v13
	v_sub_f32_e32 v13, v29, v17
	;; [unrolled: 1-line block ×6, first 2 shown]
	v_fma_f32 v19, v21, 2.0, -v11
	v_fma_f32 v21, v29, 2.0, -v13
	;; [unrolled: 1-line block ×8, first 2 shown]
	ds_write2_b64 v45, v[13:14], v[9:10] offset0:104 offset1:156
	ds_write2_b64 v45, v[21:22], v[15:16] offset1:52
	ds_write2_b64 v46, v[29:30], v[19:20] offset1:52
	ds_write2_b64 v46, v[17:18], v[11:12] offset0:104 offset1:156
	v_add_co_u32_e32 v21, vcc, s12, v0
	v_addc_co_u32_e32 v22, vcc, v44, v1, vcc
	s_waitcnt lgkmcnt(0)
	s_barrier
	global_load_dwordx2 v[29:30], v[21:22], off offset:1560
	global_load_dwordx2 v[32:33], v6, s[12:13] offset:1560
	global_load_dwordx2 v[34:35], v5, s[12:13] offset:1560
	v_add_u32_e32 v6, 0, v6
	v_add_u32_e32 v5, 0, v5
	;; [unrolled: 1-line block ×4, first 2 shown]
	ds_read2_b64 v[5:8], v31 offset1:208
	ds_read2_b64 v[9:12], v3 offset1:208
	ds_read2_b64 v[13:16], v2 offset0:32 offset1:240
	ds_read2_b64 v[17:20], v4 offset0:32 offset1:240
	s_waitcnt vmcnt(0) lgkmcnt(0)
	s_barrier
	v_mul_f32_e32 v37, v30, v10
	v_mul_f32_e32 v38, v30, v9
	;; [unrolled: 1-line block ×8, first 2 shown]
	v_fmac_f32_e32 v37, v29, v9
	v_fma_f32 v10, v29, v10, -v38
	v_fmac_f32_e32 v39, v29, v11
	v_fma_f32 v12, v29, v12, -v30
	;; [unrolled: 2-line block ×4, first 2 shown]
	v_sub_f32_e32 v9, v5, v37
	v_sub_f32_e32 v10, v6, v10
	;; [unrolled: 1-line block ×8, first 2 shown]
	v_fma_f32 v5, v5, 2.0, -v9
	v_fma_f32 v6, v6, 2.0, -v10
	v_add_co_u32_e32 v32, vcc, s4, v21
	v_fma_f32 v7, v7, 2.0, -v11
	v_fma_f32 v8, v8, 2.0, -v12
	;; [unrolled: 1-line block ×6, first 2 shown]
	ds_write2_b64 v31, v[5:6], v[9:10] offset1:208
	ds_write2_b64 v2, v[7:8], v[11:12] offset0:32 offset1:240
	ds_write2_b64 v23, v[13:14], v[17:18] offset1:208
	ds_write2_b64 v36, v[15:16], v[19:20] offset0:32 offset1:240
	s_waitcnt lgkmcnt(0)
	s_barrier
	global_load_dwordx2 v[29:30], v[21:22], off offset:3224
	v_addc_co_u32_e32 v33, vcc, 0, v22, vcc
	global_load_dwordx2 v[34:35], v[32:33], off offset:792
	ds_read2_b64 v[5:8], v31 offset1:208
	ds_read2_b64 v[9:12], v3 offset1:208
	ds_read2_b64 v[13:16], v2 offset0:32 offset1:240
	ds_read2_b64 v[17:20], v4 offset0:32 offset1:240
	s_movk_i32 s4, 0x2000
	s_waitcnt vmcnt(0) lgkmcnt(0)
	s_barrier
	v_mul_f32_e32 v23, v30, v10
	v_mul_f32_e32 v36, v30, v9
	;; [unrolled: 1-line block ×8, first 2 shown]
	v_fmac_f32_e32 v23, v29, v9
	v_fma_f32 v10, v29, v10, -v36
	v_fmac_f32_e32 v37, v34, v11
	v_fma_f32 v12, v34, v12, -v38
	v_fmac_f32_e32 v39, v29, v17
	v_fma_f32 v18, v29, v18, -v30
	v_fmac_f32_e32 v40, v34, v19
	v_fma_f32 v20, v34, v20, -v35
	v_sub_f32_e32 v9, v5, v23
	v_sub_f32_e32 v10, v6, v10
	;; [unrolled: 1-line block ×8, first 2 shown]
	v_fma_f32 v5, v5, 2.0, -v9
	v_fma_f32 v6, v6, 2.0, -v10
	;; [unrolled: 1-line block ×8, first 2 shown]
	ds_write2_b64 v2, v[9:10], v[11:12] offset0:32 offset1:240
	ds_write2_b64 v4, v[17:18], v[19:20] offset0:32 offset1:240
	ds_write2_b64 v31, v[5:6], v[7:8] offset1:208
	ds_write2_b64 v3, v[13:14], v[15:16] offset1:208
	v_add_co_u32_e32 v5, vcc, s4, v21
	s_waitcnt lgkmcnt(0)
	s_barrier
	global_load_dwordx2 v[29:30], v[32:33], off offset:2456
	v_addc_co_u32_e32 v6, vcc, 0, v22, vcc
	global_load_dwordx2 v[21:22], v[5:6], off offset:24
	global_load_dwordx2 v[32:33], v[5:6], off offset:1688
	;; [unrolled: 1-line block ×3, first 2 shown]
	ds_read2_b64 v[5:8], v31 offset1:208
	ds_read2_b64 v[9:12], v3 offset1:208
	ds_read2_b64 v[13:16], v2 offset0:32 offset1:240
	ds_read2_b64 v[17:20], v4 offset0:32 offset1:240
	s_waitcnt vmcnt(0) lgkmcnt(0)
	s_barrier
	v_cmp_ne_u32_e32 vcc, 0, v28
	v_mul_f32_e32 v23, v30, v10
	v_mul_f32_e32 v30, v30, v9
	;; [unrolled: 1-line block ×8, first 2 shown]
	v_fmac_f32_e32 v23, v29, v9
	v_fma_f32 v10, v29, v10, -v30
	v_fmac_f32_e32 v36, v21, v11
	v_fma_f32 v12, v21, v12, -v22
	;; [unrolled: 2-line block ×4, first 2 shown]
	v_sub_f32_e32 v9, v5, v23
	v_sub_f32_e32 v10, v6, v10
	;; [unrolled: 1-line block ×8, first 2 shown]
	v_fma_f32 v5, v5, 2.0, -v9
	v_fma_f32 v6, v6, 2.0, -v10
	;; [unrolled: 1-line block ×8, first 2 shown]
	ds_write2_b64 v3, v[9:10], v[11:12] offset1:208
	ds_write2_b64 v4, v[17:18], v[19:20] offset0:32 offset1:240
	ds_write2_b64 v31, v[5:6], v[7:8] offset1:208
	ds_write2_b64 v2, v[13:14], v[15:16] offset0:32 offset1:240
	s_waitcnt lgkmcnt(0)
	s_barrier
	ds_read_b64 v[4:5], v31
	v_lshlrev_b32_e32 v2, 3, v28
	v_sub_u32_e32 v6, 0, v2
                                        ; implicit-def: $vgpr2
                                        ; implicit-def: $vgpr7
                                        ; implicit-def: $vgpr8
	s_and_saveexec_b64 s[4:5], vcc
	s_xor_b64 s[4:5], exec, s[4:5]
	s_cbranch_execz .LBB0_17
; %bb.16:
	v_mov_b32_e32 v3, s7
	v_add_co_u32_e32 v2, vcc, s6, v0
	v_addc_co_u32_e32 v3, vcc, v3, v1, vcc
	global_load_dwordx2 v[9:10], v[2:3], off
	ds_read_b64 v[2:3], v6 offset:13312
	s_waitcnt lgkmcnt(0)
	v_add_f32_e32 v11, v2, v4
	v_sub_f32_e32 v2, v4, v2
	v_add_f32_e32 v7, v3, v5
	v_sub_f32_e32 v3, v5, v3
	v_mul_f32_e32 v5, 0.5, v2
	v_mul_f32_e32 v4, 0.5, v7
	v_mul_f32_e32 v2, 0.5, v3
	s_waitcnt vmcnt(0)
	v_mul_f32_e32 v3, v10, v5
	v_fma_f32 v8, v4, v10, v2
	v_fma_f32 v10, v4, v10, -v2
	v_fma_f32 v7, 0.5, v11, v3
	v_fma_f32 v2, v11, 0.5, -v3
	v_fma_f32 v8, -v9, v5, v8
	v_fmac_f32_e32 v7, v9, v4
	v_fma_f32 v2, -v9, v4, v2
	v_fma_f32 v3, -v9, v5, v10
                                        ; implicit-def: $vgpr4_vgpr5
.LBB0_17:
	s_andn2_saveexec_b64 s[4:5], s[4:5]
	s_cbranch_execz .LBB0_19
; %bb.18:
	v_mov_b32_e32 v8, 0
	ds_read_b32 v3, v8 offset:6660
	s_waitcnt lgkmcnt(1)
	v_add_f32_e32 v7, v4, v5
	v_sub_f32_e32 v2, v4, v5
	s_waitcnt lgkmcnt(0)
	v_xor_b32_e32 v3, 0x80000000, v3
	ds_write_b32 v8, v3 offset:6660
	v_mov_b32_e32 v3, 0
.LBB0_19:
	s_or_b64 exec, exec, s[4:5]
	s_waitcnt lgkmcnt(0)
	v_mov_b32_e32 v4, s7
	v_add_co_u32_e32 v0, vcc, s6, v0
	v_addc_co_u32_e32 v1, vcc, v4, v1, vcc
	global_load_dwordx2 v[4:5], v[0:1], off offset:1664
	global_load_dwordx2 v[9:10], v[0:1], off offset:3328
	s_movk_i32 s4, 0x1000
	v_add_co_u32_e32 v0, vcc, s4, v0
	v_addc_co_u32_e32 v1, vcc, 0, v1, vcc
	global_load_dwordx2 v[0:1], v[0:1], off offset:896
	ds_write2_b32 v31, v7, v8 offset1:1
	ds_write_b64 v6, v[2:3] offset:13312
	ds_read_b64 v[2:3], v31 offset:1664
	ds_read_b64 v[7:8], v6 offset:11648
	v_add_u32_e32 v11, 0x400, v31
	s_waitcnt lgkmcnt(0)
	v_add_f32_e32 v12, v2, v7
	v_sub_f32_e32 v2, v2, v7
	v_add_f32_e32 v13, v3, v8
	v_sub_f32_e32 v3, v3, v8
	v_mul_f32_e32 v2, 0.5, v2
	v_mul_f32_e32 v7, 0.5, v13
	v_mul_f32_e32 v3, 0.5, v3
	s_waitcnt vmcnt(2)
	v_mul_f32_e32 v8, v5, v2
	v_fma_f32 v13, v7, v5, v3
	v_fma_f32 v3, v7, v5, -v3
	v_fma_f32 v5, 0.5, v12, v8
	v_fma_f32 v13, -v4, v2, v13
	v_fma_f32 v8, v12, 0.5, -v8
	v_fmac_f32_e32 v5, v4, v7
	v_fma_f32 v3, -v4, v2, v3
	v_fma_f32 v2, -v4, v7, v8
	ds_write2_b32 v11, v5, v13 offset0:160 offset1:161
	ds_write_b64 v6, v[2:3] offset:11648
	ds_read_b64 v[2:3], v31 offset:3328
	ds_read_b64 v[4:5], v6 offset:9984
	v_add_u32_e32 v7, 0xc00, v31
	s_waitcnt lgkmcnt(0)
	v_add_f32_e32 v8, v2, v4
	v_sub_f32_e32 v2, v2, v4
	v_add_f32_e32 v11, v3, v5
	v_sub_f32_e32 v3, v3, v5
	v_mul_f32_e32 v2, 0.5, v2
	v_mul_f32_e32 v4, 0.5, v11
	v_mul_f32_e32 v3, 0.5, v3
	s_waitcnt vmcnt(1)
	v_mul_f32_e32 v5, v10, v2
	v_fma_f32 v11, v4, v10, v3
	v_fma_f32 v3, v4, v10, -v3
	v_fma_f32 v10, 0.5, v8, v5
	v_fma_f32 v11, -v9, v2, v11
	v_fma_f32 v5, v8, 0.5, -v5
	v_fmac_f32_e32 v10, v9, v4
	v_fma_f32 v3, -v9, v2, v3
	v_fma_f32 v2, -v9, v4, v5
	ds_write2_b32 v7, v10, v11 offset0:64 offset1:65
	;; [unrolled: 23-line block ×3, first 2 shown]
	ds_write_b64 v6, v[0:1] offset:8320
	s_waitcnt lgkmcnt(0)
	s_barrier
	s_and_saveexec_b64 s[4:5], s[0:1]
	s_cbranch_execz .LBB0_22
; %bb.20:
	v_mul_lo_u32 v2, s3, v26
	v_mul_lo_u32 v3, s2, v27
	v_mad_u64_u32 v[0:1], s[0:1], s2, v26, 0
	v_mov_b32_e32 v6, s11
	v_lshl_add_u32 v8, v28, 3, 0
	v_add3_u32 v1, v1, v3, v2
	v_lshlrev_b64 v[0:1], 3, v[0:1]
	v_mov_b32_e32 v29, 0
	v_add_co_u32_e32 v0, vcc, s10, v0
	v_addc_co_u32_e32 v9, vcc, v6, v1, vcc
	v_lshlrev_b64 v[6:7], 3, v[24:25]
	ds_read2_b64 v[2:5], v8 offset1:208
	v_add_co_u32_e32 v1, vcc, v0, v6
	v_addc_co_u32_e32 v0, vcc, v9, v7, vcc
	v_lshlrev_b64 v[6:7], 3, v[28:29]
	s_movk_i32 s0, 0xcf
	v_add_co_u32_e32 v6, vcc, v1, v6
	v_addc_co_u32_e32 v7, vcc, v0, v7, vcc
	s_waitcnt lgkmcnt(0)
	global_store_dwordx2 v[6:7], v[2:3], off
	v_add_u32_e32 v2, 0xd0, v28
	v_mov_b32_e32 v3, v29
	v_lshlrev_b64 v[2:3], 3, v[2:3]
	v_add_u32_e32 v6, 0x1a0, v28
	v_add_co_u32_e32 v2, vcc, v1, v2
	v_addc_co_u32_e32 v3, vcc, v0, v3, vcc
	global_store_dwordx2 v[2:3], v[4:5], off
	v_add_u32_e32 v2, 0xc00, v8
	v_mov_b32_e32 v7, v29
	ds_read2_b64 v[2:5], v2 offset0:32 offset1:240
	v_lshlrev_b64 v[6:7], 3, v[6:7]
	v_add_co_u32_e32 v6, vcc, v1, v6
	v_addc_co_u32_e32 v7, vcc, v0, v7, vcc
	s_waitcnt lgkmcnt(0)
	global_store_dwordx2 v[6:7], v[2:3], off
	v_add_u32_e32 v2, 0x270, v28
	v_mov_b32_e32 v3, v29
	v_lshlrev_b64 v[2:3], 3, v[2:3]
	v_add_u32_e32 v6, 0x340, v28
	v_add_co_u32_e32 v2, vcc, v1, v2
	v_addc_co_u32_e32 v3, vcc, v0, v3, vcc
	global_store_dwordx2 v[2:3], v[4:5], off
	v_add_u32_e32 v2, 0x1a00, v8
	v_mov_b32_e32 v7, v29
	ds_read2_b64 v[2:5], v2 offset1:208
	v_lshlrev_b64 v[6:7], 3, v[6:7]
	v_add_co_u32_e32 v6, vcc, v1, v6
	v_addc_co_u32_e32 v7, vcc, v0, v7, vcc
	s_waitcnt lgkmcnt(0)
	global_store_dwordx2 v[6:7], v[2:3], off
	v_add_u32_e32 v2, 0x410, v28
	v_mov_b32_e32 v3, v29
	v_lshlrev_b64 v[2:3], 3, v[2:3]
	v_add_u32_e32 v6, 0x4e0, v28
	v_add_co_u32_e32 v2, vcc, v1, v2
	v_addc_co_u32_e32 v3, vcc, v0, v3, vcc
	global_store_dwordx2 v[2:3], v[4:5], off
	v_add_u32_e32 v2, 0x2600, v8
	v_mov_b32_e32 v7, v29
	ds_read2_b64 v[2:5], v2 offset0:32 offset1:240
	v_lshlrev_b64 v[6:7], 3, v[6:7]
	v_add_co_u32_e32 v6, vcc, v1, v6
	v_addc_co_u32_e32 v7, vcc, v0, v7, vcc
	s_waitcnt lgkmcnt(0)
	global_store_dwordx2 v[6:7], v[2:3], off
	v_add_u32_e32 v2, 0x5b0, v28
	v_mov_b32_e32 v3, v29
	v_lshlrev_b64 v[2:3], 3, v[2:3]
	v_add_co_u32_e32 v2, vcc, v1, v2
	v_addc_co_u32_e32 v3, vcc, v0, v3, vcc
	v_cmp_eq_u32_e32 vcc, s0, v28
	global_store_dwordx2 v[2:3], v[4:5], off
	s_and_b64 exec, exec, vcc
	s_cbranch_execz .LBB0_22
; %bb.21:
	ds_read_b64 v[2:3], v29 offset:13312
	v_add_co_u32_e32 v4, vcc, 0x3000, v1
	v_addc_co_u32_e32 v5, vcc, 0, v0, vcc
	s_waitcnt lgkmcnt(0)
	global_store_dwordx2 v[4:5], v[2:3], off offset:1024
.LBB0_22:
	s_endpgm
	.section	.rodata,"a",@progbits
	.p2align	6, 0x0
	.amdhsa_kernel fft_rtc_back_len1664_factors_13_2_2_4_2_2_2_wgs_208_tpt_208_halfLds_sp_op_CI_CI_unitstride_sbrr_R2C_dirReg
		.amdhsa_group_segment_fixed_size 0
		.amdhsa_private_segment_fixed_size 0
		.amdhsa_kernarg_size 104
		.amdhsa_user_sgpr_count 6
		.amdhsa_user_sgpr_private_segment_buffer 1
		.amdhsa_user_sgpr_dispatch_ptr 0
		.amdhsa_user_sgpr_queue_ptr 0
		.amdhsa_user_sgpr_kernarg_segment_ptr 1
		.amdhsa_user_sgpr_dispatch_id 0
		.amdhsa_user_sgpr_flat_scratch_init 0
		.amdhsa_user_sgpr_private_segment_size 0
		.amdhsa_uses_dynamic_stack 0
		.amdhsa_system_sgpr_private_segment_wavefront_offset 0
		.amdhsa_system_sgpr_workgroup_id_x 1
		.amdhsa_system_sgpr_workgroup_id_y 0
		.amdhsa_system_sgpr_workgroup_id_z 0
		.amdhsa_system_sgpr_workgroup_info 0
		.amdhsa_system_vgpr_workitem_id 0
		.amdhsa_next_free_vgpr 102
		.amdhsa_next_free_sgpr 28
		.amdhsa_reserve_vcc 1
		.amdhsa_reserve_flat_scratch 0
		.amdhsa_float_round_mode_32 0
		.amdhsa_float_round_mode_16_64 0
		.amdhsa_float_denorm_mode_32 3
		.amdhsa_float_denorm_mode_16_64 3
		.amdhsa_dx10_clamp 1
		.amdhsa_ieee_mode 1
		.amdhsa_fp16_overflow 0
		.amdhsa_exception_fp_ieee_invalid_op 0
		.amdhsa_exception_fp_denorm_src 0
		.amdhsa_exception_fp_ieee_div_zero 0
		.amdhsa_exception_fp_ieee_overflow 0
		.amdhsa_exception_fp_ieee_underflow 0
		.amdhsa_exception_fp_ieee_inexact 0
		.amdhsa_exception_int_div_zero 0
	.end_amdhsa_kernel
	.text
.Lfunc_end0:
	.size	fft_rtc_back_len1664_factors_13_2_2_4_2_2_2_wgs_208_tpt_208_halfLds_sp_op_CI_CI_unitstride_sbrr_R2C_dirReg, .Lfunc_end0-fft_rtc_back_len1664_factors_13_2_2_4_2_2_2_wgs_208_tpt_208_halfLds_sp_op_CI_CI_unitstride_sbrr_R2C_dirReg
                                        ; -- End function
	.section	.AMDGPU.csdata,"",@progbits
; Kernel info:
; codeLenInByte = 8104
; NumSgprs: 32
; NumVgprs: 102
; ScratchSize: 0
; MemoryBound: 0
; FloatMode: 240
; IeeeMode: 1
; LDSByteSize: 0 bytes/workgroup (compile time only)
; SGPRBlocks: 3
; VGPRBlocks: 25
; NumSGPRsForWavesPerEU: 32
; NumVGPRsForWavesPerEU: 102
; Occupancy: 2
; WaveLimiterHint : 1
; COMPUTE_PGM_RSRC2:SCRATCH_EN: 0
; COMPUTE_PGM_RSRC2:USER_SGPR: 6
; COMPUTE_PGM_RSRC2:TRAP_HANDLER: 0
; COMPUTE_PGM_RSRC2:TGID_X_EN: 1
; COMPUTE_PGM_RSRC2:TGID_Y_EN: 0
; COMPUTE_PGM_RSRC2:TGID_Z_EN: 0
; COMPUTE_PGM_RSRC2:TIDIG_COMP_CNT: 0
	.type	__hip_cuid_e4df37af6a85741e,@object ; @__hip_cuid_e4df37af6a85741e
	.section	.bss,"aw",@nobits
	.globl	__hip_cuid_e4df37af6a85741e
__hip_cuid_e4df37af6a85741e:
	.byte	0                               ; 0x0
	.size	__hip_cuid_e4df37af6a85741e, 1

	.ident	"AMD clang version 19.0.0git (https://github.com/RadeonOpenCompute/llvm-project roc-6.4.0 25133 c7fe45cf4b819c5991fe208aaa96edf142730f1d)"
	.section	".note.GNU-stack","",@progbits
	.addrsig
	.addrsig_sym __hip_cuid_e4df37af6a85741e
	.amdgpu_metadata
---
amdhsa.kernels:
  - .args:
      - .actual_access:  read_only
        .address_space:  global
        .offset:         0
        .size:           8
        .value_kind:     global_buffer
      - .offset:         8
        .size:           8
        .value_kind:     by_value
      - .actual_access:  read_only
        .address_space:  global
        .offset:         16
        .size:           8
        .value_kind:     global_buffer
      - .actual_access:  read_only
        .address_space:  global
        .offset:         24
        .size:           8
        .value_kind:     global_buffer
      - .actual_access:  read_only
        .address_space:  global
        .offset:         32
        .size:           8
        .value_kind:     global_buffer
      - .offset:         40
        .size:           8
        .value_kind:     by_value
      - .actual_access:  read_only
        .address_space:  global
        .offset:         48
        .size:           8
        .value_kind:     global_buffer
      - .actual_access:  read_only
        .address_space:  global
        .offset:         56
        .size:           8
        .value_kind:     global_buffer
      - .offset:         64
        .size:           4
        .value_kind:     by_value
      - .actual_access:  read_only
        .address_space:  global
        .offset:         72
        .size:           8
        .value_kind:     global_buffer
      - .actual_access:  read_only
        .address_space:  global
        .offset:         80
        .size:           8
        .value_kind:     global_buffer
      - .actual_access:  read_only
        .address_space:  global
        .offset:         88
        .size:           8
        .value_kind:     global_buffer
      - .actual_access:  write_only
        .address_space:  global
        .offset:         96
        .size:           8
        .value_kind:     global_buffer
    .group_segment_fixed_size: 0
    .kernarg_segment_align: 8
    .kernarg_segment_size: 104
    .language:       OpenCL C
    .language_version:
      - 2
      - 0
    .max_flat_workgroup_size: 208
    .name:           fft_rtc_back_len1664_factors_13_2_2_4_2_2_2_wgs_208_tpt_208_halfLds_sp_op_CI_CI_unitstride_sbrr_R2C_dirReg
    .private_segment_fixed_size: 0
    .sgpr_count:     32
    .sgpr_spill_count: 0
    .symbol:         fft_rtc_back_len1664_factors_13_2_2_4_2_2_2_wgs_208_tpt_208_halfLds_sp_op_CI_CI_unitstride_sbrr_R2C_dirReg.kd
    .uniform_work_group_size: 1
    .uses_dynamic_stack: false
    .vgpr_count:     102
    .vgpr_spill_count: 0
    .wavefront_size: 64
amdhsa.target:   amdgcn-amd-amdhsa--gfx906
amdhsa.version:
  - 1
  - 2
...

	.end_amdgpu_metadata
